;; amdgpu-corpus repo=llvm/llvm-project kind=harvested arch=n/a opt=n/a
// NOTE: Assertions have been autogenerated by utils/update_mc_test_checks.py UTC_ARGS: --unique --sort --version 6
// RUN: not llvm-mc -triple=amdgcn -mcpu=gfx1010 -mattr=+wavefrontsize32 %s -filetype=null 2>&1 | FileCheck --implicit-check-not=error: %s
// RUN: not llvm-mc -triple=amdgcn -mcpu=gfx1010 -mattr=+wavefrontsize64 %s -filetype=null 2>&1 | FileCheck --implicit-check-not=error: %s
// RUN: not llvm-mc -triple=amdgcn -mcpu=gfx1013 -mattr=+wavefrontsize32 %s -filetype=null 2>&1 | FileCheck --implicit-check-not=error: %s

v_add_co_u32_e32 v2, vcc, s0, v2
// CHECK: :[[@LINE-1]]:1: error: e32 variant of this instruction is not supported

v_ashrrev_i16_e32 v1, v2, v3
// CHECK: :[[@LINE-1]]:1: error: e32 variant of this instruction is not supported

v_lshlrev_b16_e32 v1, v2, v3
// CHECK: :[[@LINE-1]]:1: error: e32 variant of this instruction is not supported

v_lshrrev_b16_e32 v1, v2, v3
// CHECK: :[[@LINE-1]]:1: error: e32 variant of this instruction is not supported

v_max_i16_e32 v1, v2, v3
// CHECK: :[[@LINE-1]]:1: error: e32 variant of this instruction is not supported

v_max_u16_e32 v1, v2, v3
// CHECK: :[[@LINE-1]]:1: error: e32 variant of this instruction is not supported

v_min_i16_e32 v1, v2, v3
// CHECK: :[[@LINE-1]]:1: error: e32 variant of this instruction is not supported

v_min_u16_e32 v1, v2, v3
// CHECK: :[[@LINE-1]]:1: error: e32 variant of this instruction is not supported

v_mul_lo_u16_e32 v1, v2, v3
// CHECK: :[[@LINE-1]]:1: error: e32 variant of this instruction is not supported

v_sub_co_u32_e32 v2, vcc, s0, v2
// CHECK: :[[@LINE-1]]:1: error: e32 variant of this instruction is not supported

v_subrev_co_u32_e32 v2, vcc, s0, v2
// CHECK: :[[@LINE-1]]:1: error: e32 variant of this instruction is not supported
